;; amdgpu-corpus repo=ROCm/rocFFT kind=compiled arch=gfx1201 opt=O3
	.text
	.amdgcn_target "amdgcn-amd-amdhsa--gfx1201"
	.amdhsa_code_object_version 6
	.protected	fft_rtc_fwd_len1620_factors_10_3_3_6_3_wgs_162_tpt_162_halfLds_dp_ip_CI_unitstride_sbrr_dirReg ; -- Begin function fft_rtc_fwd_len1620_factors_10_3_3_6_3_wgs_162_tpt_162_halfLds_dp_ip_CI_unitstride_sbrr_dirReg
	.globl	fft_rtc_fwd_len1620_factors_10_3_3_6_3_wgs_162_tpt_162_halfLds_dp_ip_CI_unitstride_sbrr_dirReg
	.p2align	8
	.type	fft_rtc_fwd_len1620_factors_10_3_3_6_3_wgs_162_tpt_162_halfLds_dp_ip_CI_unitstride_sbrr_dirReg,@function
fft_rtc_fwd_len1620_factors_10_3_3_6_3_wgs_162_tpt_162_halfLds_dp_ip_CI_unitstride_sbrr_dirReg: ; @fft_rtc_fwd_len1620_factors_10_3_3_6_3_wgs_162_tpt_162_halfLds_dp_ip_CI_unitstride_sbrr_dirReg
; %bb.0:
	s_clause 0x2
	s_load_b128 s[4:7], s[0:1], 0x0
	s_load_b64 s[8:9], s[0:1], 0x50
	s_load_b64 s[10:11], s[0:1], 0x18
	v_mul_u32_u24_e32 v1, 0x195, v0
	v_mov_b32_e32 v3, 0
	s_delay_alu instid0(VALU_DEP_2) | instskip(NEXT) | instid1(VALU_DEP_1)
	v_lshrrev_b32_e32 v1, 16, v1
	v_add_nc_u32_e32 v5, ttmp9, v1
	v_mov_b32_e32 v1, 0
	v_mov_b32_e32 v2, 0
	;; [unrolled: 1-line block ×3, first 2 shown]
	s_wait_kmcnt 0x0
	v_cmp_lt_u64_e64 s2, s[6:7], 2
	s_delay_alu instid0(VALU_DEP_1)
	s_and_b32 vcc_lo, exec_lo, s2
	s_cbranch_vccnz .LBB0_8
; %bb.1:
	s_load_b64 s[2:3], s[0:1], 0x10
	v_mov_b32_e32 v1, 0
	v_mov_b32_e32 v2, 0
	s_add_nc_u64 s[12:13], s[10:11], 8
	s_mov_b64 s[14:15], 1
	s_wait_kmcnt 0x0
	s_add_nc_u64 s[16:17], s[2:3], 8
	s_mov_b32 s3, 0
.LBB0_2:                                ; =>This Inner Loop Header: Depth=1
	s_load_b64 s[18:19], s[16:17], 0x0
                                        ; implicit-def: $vgpr7_vgpr8
	s_mov_b32 s2, exec_lo
	s_wait_kmcnt 0x0
	v_or_b32_e32 v4, s19, v6
	s_delay_alu instid0(VALU_DEP_1)
	v_cmpx_ne_u64_e32 0, v[3:4]
	s_wait_alu 0xfffe
	s_xor_b32 s20, exec_lo, s2
	s_cbranch_execz .LBB0_4
; %bb.3:                                ;   in Loop: Header=BB0_2 Depth=1
	s_cvt_f32_u32 s2, s18
	s_cvt_f32_u32 s21, s19
	s_sub_nc_u64 s[24:25], 0, s[18:19]
	s_wait_alu 0xfffe
	s_delay_alu instid0(SALU_CYCLE_1) | instskip(SKIP_1) | instid1(SALU_CYCLE_2)
	s_fmamk_f32 s2, s21, 0x4f800000, s2
	s_wait_alu 0xfffe
	v_s_rcp_f32 s2, s2
	s_delay_alu instid0(TRANS32_DEP_1) | instskip(SKIP_1) | instid1(SALU_CYCLE_2)
	s_mul_f32 s2, s2, 0x5f7ffffc
	s_wait_alu 0xfffe
	s_mul_f32 s21, s2, 0x2f800000
	s_wait_alu 0xfffe
	s_delay_alu instid0(SALU_CYCLE_2) | instskip(SKIP_1) | instid1(SALU_CYCLE_2)
	s_trunc_f32 s21, s21
	s_wait_alu 0xfffe
	s_fmamk_f32 s2, s21, 0xcf800000, s2
	s_cvt_u32_f32 s23, s21
	s_wait_alu 0xfffe
	s_delay_alu instid0(SALU_CYCLE_1) | instskip(SKIP_1) | instid1(SALU_CYCLE_2)
	s_cvt_u32_f32 s22, s2
	s_wait_alu 0xfffe
	s_mul_u64 s[26:27], s[24:25], s[22:23]
	s_wait_alu 0xfffe
	s_mul_hi_u32 s29, s22, s27
	s_mul_i32 s28, s22, s27
	s_mul_hi_u32 s2, s22, s26
	s_mul_i32 s30, s23, s26
	s_wait_alu 0xfffe
	s_add_nc_u64 s[28:29], s[2:3], s[28:29]
	s_mul_hi_u32 s21, s23, s26
	s_mul_hi_u32 s31, s23, s27
	s_add_co_u32 s2, s28, s30
	s_wait_alu 0xfffe
	s_add_co_ci_u32 s2, s29, s21
	s_mul_i32 s26, s23, s27
	s_add_co_ci_u32 s27, s31, 0
	s_wait_alu 0xfffe
	s_add_nc_u64 s[26:27], s[2:3], s[26:27]
	s_wait_alu 0xfffe
	v_add_co_u32 v4, s2, s22, s26
	s_delay_alu instid0(VALU_DEP_1) | instskip(SKIP_1) | instid1(VALU_DEP_1)
	s_cmp_lg_u32 s2, 0
	s_add_co_ci_u32 s23, s23, s27
	v_readfirstlane_b32 s22, v4
	s_wait_alu 0xfffe
	s_delay_alu instid0(VALU_DEP_1)
	s_mul_u64 s[24:25], s[24:25], s[22:23]
	s_wait_alu 0xfffe
	s_mul_hi_u32 s27, s22, s25
	s_mul_i32 s26, s22, s25
	s_mul_hi_u32 s2, s22, s24
	s_mul_i32 s28, s23, s24
	s_wait_alu 0xfffe
	s_add_nc_u64 s[26:27], s[2:3], s[26:27]
	s_mul_hi_u32 s21, s23, s24
	s_mul_hi_u32 s22, s23, s25
	s_wait_alu 0xfffe
	s_add_co_u32 s2, s26, s28
	s_add_co_ci_u32 s2, s27, s21
	s_mul_i32 s24, s23, s25
	s_add_co_ci_u32 s25, s22, 0
	s_wait_alu 0xfffe
	s_add_nc_u64 s[24:25], s[2:3], s[24:25]
	s_wait_alu 0xfffe
	v_add_co_u32 v4, s2, v4, s24
	s_delay_alu instid0(VALU_DEP_1) | instskip(SKIP_1) | instid1(VALU_DEP_1)
	s_cmp_lg_u32 s2, 0
	s_add_co_ci_u32 s2, s23, s25
	v_mul_hi_u32 v13, v5, v4
	s_wait_alu 0xfffe
	v_mad_co_u64_u32 v[7:8], null, v5, s2, 0
	v_mad_co_u64_u32 v[9:10], null, v6, v4, 0
	;; [unrolled: 1-line block ×3, first 2 shown]
	s_delay_alu instid0(VALU_DEP_3) | instskip(SKIP_1) | instid1(VALU_DEP_4)
	v_add_co_u32 v4, vcc_lo, v13, v7
	s_wait_alu 0xfffd
	v_add_co_ci_u32_e32 v7, vcc_lo, 0, v8, vcc_lo
	s_delay_alu instid0(VALU_DEP_2) | instskip(SKIP_1) | instid1(VALU_DEP_2)
	v_add_co_u32 v4, vcc_lo, v4, v9
	s_wait_alu 0xfffd
	v_add_co_ci_u32_e32 v4, vcc_lo, v7, v10, vcc_lo
	s_wait_alu 0xfffd
	v_add_co_ci_u32_e32 v7, vcc_lo, 0, v12, vcc_lo
	s_delay_alu instid0(VALU_DEP_2) | instskip(SKIP_1) | instid1(VALU_DEP_2)
	v_add_co_u32 v4, vcc_lo, v4, v11
	s_wait_alu 0xfffd
	v_add_co_ci_u32_e32 v9, vcc_lo, 0, v7, vcc_lo
	s_delay_alu instid0(VALU_DEP_2) | instskip(SKIP_1) | instid1(VALU_DEP_3)
	v_mul_lo_u32 v10, s19, v4
	v_mad_co_u64_u32 v[7:8], null, s18, v4, 0
	v_mul_lo_u32 v11, s18, v9
	s_delay_alu instid0(VALU_DEP_2) | instskip(NEXT) | instid1(VALU_DEP_2)
	v_sub_co_u32 v7, vcc_lo, v5, v7
	v_add3_u32 v8, v8, v11, v10
	s_delay_alu instid0(VALU_DEP_1) | instskip(SKIP_1) | instid1(VALU_DEP_1)
	v_sub_nc_u32_e32 v10, v6, v8
	s_wait_alu 0xfffd
	v_subrev_co_ci_u32_e64 v10, s2, s19, v10, vcc_lo
	v_add_co_u32 v11, s2, v4, 2
	s_wait_alu 0xf1ff
	v_add_co_ci_u32_e64 v12, s2, 0, v9, s2
	v_sub_co_u32 v13, s2, v7, s18
	v_sub_co_ci_u32_e32 v8, vcc_lo, v6, v8, vcc_lo
	s_wait_alu 0xf1ff
	v_subrev_co_ci_u32_e64 v10, s2, 0, v10, s2
	s_delay_alu instid0(VALU_DEP_3) | instskip(NEXT) | instid1(VALU_DEP_3)
	v_cmp_le_u32_e32 vcc_lo, s18, v13
	v_cmp_eq_u32_e64 s2, s19, v8
	s_wait_alu 0xfffd
	v_cndmask_b32_e64 v13, 0, -1, vcc_lo
	v_cmp_le_u32_e32 vcc_lo, s19, v10
	s_wait_alu 0xfffd
	v_cndmask_b32_e64 v14, 0, -1, vcc_lo
	v_cmp_le_u32_e32 vcc_lo, s18, v7
	;; [unrolled: 3-line block ×3, first 2 shown]
	s_wait_alu 0xfffd
	v_cndmask_b32_e64 v15, 0, -1, vcc_lo
	v_cmp_eq_u32_e32 vcc_lo, s19, v10
	s_wait_alu 0xf1ff
	s_delay_alu instid0(VALU_DEP_2)
	v_cndmask_b32_e64 v7, v15, v7, s2
	s_wait_alu 0xfffd
	v_cndmask_b32_e32 v10, v14, v13, vcc_lo
	v_add_co_u32 v13, vcc_lo, v4, 1
	s_wait_alu 0xfffd
	v_add_co_ci_u32_e32 v14, vcc_lo, 0, v9, vcc_lo
	s_delay_alu instid0(VALU_DEP_3) | instskip(SKIP_2) | instid1(VALU_DEP_3)
	v_cmp_ne_u32_e32 vcc_lo, 0, v10
	s_wait_alu 0xfffd
	v_cndmask_b32_e32 v10, v13, v11, vcc_lo
	v_cndmask_b32_e32 v8, v14, v12, vcc_lo
	v_cmp_ne_u32_e32 vcc_lo, 0, v7
	s_wait_alu 0xfffd
	s_delay_alu instid0(VALU_DEP_2)
	v_dual_cndmask_b32 v7, v4, v10 :: v_dual_cndmask_b32 v8, v9, v8
.LBB0_4:                                ;   in Loop: Header=BB0_2 Depth=1
	s_wait_alu 0xfffe
	s_and_not1_saveexec_b32 s2, s20
	s_cbranch_execz .LBB0_6
; %bb.5:                                ;   in Loop: Header=BB0_2 Depth=1
	v_cvt_f32_u32_e32 v4, s18
	s_sub_co_i32 s20, 0, s18
	s_delay_alu instid0(VALU_DEP_1) | instskip(NEXT) | instid1(TRANS32_DEP_1)
	v_rcp_iflag_f32_e32 v4, v4
	v_mul_f32_e32 v4, 0x4f7ffffe, v4
	s_delay_alu instid0(VALU_DEP_1) | instskip(SKIP_1) | instid1(VALU_DEP_1)
	v_cvt_u32_f32_e32 v4, v4
	s_wait_alu 0xfffe
	v_mul_lo_u32 v7, s20, v4
	s_delay_alu instid0(VALU_DEP_1) | instskip(NEXT) | instid1(VALU_DEP_1)
	v_mul_hi_u32 v7, v4, v7
	v_add_nc_u32_e32 v4, v4, v7
	s_delay_alu instid0(VALU_DEP_1) | instskip(NEXT) | instid1(VALU_DEP_1)
	v_mul_hi_u32 v4, v5, v4
	v_mul_lo_u32 v7, v4, s18
	v_add_nc_u32_e32 v8, 1, v4
	s_delay_alu instid0(VALU_DEP_2) | instskip(NEXT) | instid1(VALU_DEP_1)
	v_sub_nc_u32_e32 v7, v5, v7
	v_subrev_nc_u32_e32 v9, s18, v7
	v_cmp_le_u32_e32 vcc_lo, s18, v7
	s_wait_alu 0xfffd
	s_delay_alu instid0(VALU_DEP_2) | instskip(NEXT) | instid1(VALU_DEP_1)
	v_dual_cndmask_b32 v7, v7, v9 :: v_dual_cndmask_b32 v4, v4, v8
	v_cmp_le_u32_e32 vcc_lo, s18, v7
	s_delay_alu instid0(VALU_DEP_2) | instskip(SKIP_1) | instid1(VALU_DEP_1)
	v_add_nc_u32_e32 v8, 1, v4
	s_wait_alu 0xfffd
	v_dual_cndmask_b32 v7, v4, v8 :: v_dual_mov_b32 v8, v3
.LBB0_6:                                ;   in Loop: Header=BB0_2 Depth=1
	s_wait_alu 0xfffe
	s_or_b32 exec_lo, exec_lo, s2
	s_load_b64 s[20:21], s[12:13], 0x0
	s_delay_alu instid0(VALU_DEP_1)
	v_mul_lo_u32 v4, v8, s18
	v_mul_lo_u32 v11, v7, s19
	v_mad_co_u64_u32 v[9:10], null, v7, s18, 0
	s_add_nc_u64 s[14:15], s[14:15], 1
	s_add_nc_u64 s[12:13], s[12:13], 8
	s_wait_alu 0xfffe
	v_cmp_ge_u64_e64 s2, s[14:15], s[6:7]
	s_add_nc_u64 s[16:17], s[16:17], 8
	s_delay_alu instid0(VALU_DEP_2) | instskip(NEXT) | instid1(VALU_DEP_3)
	v_add3_u32 v4, v10, v11, v4
	v_sub_co_u32 v5, vcc_lo, v5, v9
	s_wait_alu 0xfffd
	s_delay_alu instid0(VALU_DEP_2) | instskip(SKIP_3) | instid1(VALU_DEP_2)
	v_sub_co_ci_u32_e32 v4, vcc_lo, v6, v4, vcc_lo
	s_and_b32 vcc_lo, exec_lo, s2
	s_wait_kmcnt 0x0
	v_mul_lo_u32 v6, s21, v5
	v_mul_lo_u32 v4, s20, v4
	v_mad_co_u64_u32 v[1:2], null, s20, v5, v[1:2]
	s_delay_alu instid0(VALU_DEP_1)
	v_add3_u32 v2, v6, v2, v4
	s_wait_alu 0xfffe
	s_cbranch_vccnz .LBB0_9
; %bb.7:                                ;   in Loop: Header=BB0_2 Depth=1
	v_dual_mov_b32 v5, v7 :: v_dual_mov_b32 v6, v8
	s_branch .LBB0_2
.LBB0_8:
	v_dual_mov_b32 v8, v6 :: v_dual_mov_b32 v7, v5
.LBB0_9:
	s_lshl_b64 s[2:3], s[6:7], 3
	v_mul_hi_u32 v5, 0x1948b10, v0
	s_wait_alu 0xfffe
	s_add_nc_u64 s[2:3], s[10:11], s[2:3]
                                        ; implicit-def: $vgpr42_vgpr43
                                        ; implicit-def: $vgpr30_vgpr31
                                        ; implicit-def: $vgpr26_vgpr27
                                        ; implicit-def: $vgpr16_vgpr17
                                        ; implicit-def: $vgpr46_vgpr47
                                        ; implicit-def: $vgpr38_vgpr39
                                        ; implicit-def: $vgpr34_vgpr35
                                        ; implicit-def: $vgpr12_vgpr13
	s_load_b64 s[2:3], s[2:3], 0x0
	s_load_b64 s[0:1], s[0:1], 0x20
	s_wait_kmcnt 0x0
	v_mul_lo_u32 v3, s2, v8
	v_mul_lo_u32 v4, s3, v7
	v_mad_co_u64_u32 v[1:2], null, s2, v7, v[1:2]
	v_cmp_gt_u64_e32 vcc_lo, s[0:1], v[7:8]
                                        ; implicit-def: $vgpr8_vgpr9
	s_delay_alu instid0(VALU_DEP_2) | instskip(SKIP_1) | instid1(VALU_DEP_2)
	v_add3_u32 v2, v4, v2, v3
	v_mul_u32_u24_e32 v3, 0xa2, v5
                                        ; implicit-def: $vgpr4_vgpr5
	v_lshlrev_b64_e32 v[58:59], 4, v[1:2]
	s_delay_alu instid0(VALU_DEP_2)
	v_sub_nc_u32_e32 v56, v0, v3
	s_and_saveexec_b32 s1, vcc_lo
; %bb.10:
	v_mov_b32_e32 v57, 0
	s_delay_alu instid0(VALU_DEP_3) | instskip(SKIP_2) | instid1(VALU_DEP_3)
	v_add_co_u32 v2, s0, s8, v58
	s_wait_alu 0xf1ff
	v_add_co_ci_u32_e64 v3, s0, s9, v59, s0
	v_lshlrev_b64_e32 v[0:1], 4, v[56:57]
	s_delay_alu instid0(VALU_DEP_1) | instskip(SKIP_1) | instid1(VALU_DEP_2)
	v_add_co_u32 v0, s0, v2, v0
	s_wait_alu 0xf1ff
	v_add_co_ci_u32_e64 v1, s0, v3, v1, s0
	s_clause 0x9
	global_load_b128 v[2:5], v[0:1], off
	global_load_b128 v[6:9], v[0:1], off offset:2592
	global_load_b128 v[10:13], v[0:1], off offset:5184
	;; [unrolled: 1-line block ×9, first 2 shown]
; %bb.11:
	s_wait_alu 0xfffe
	s_or_b32 exec_lo, exec_lo, s1
	s_wait_loadcnt 0x2
	v_add_f64_e32 v[0:1], v[24:25], v[44:45]
	s_wait_loadcnt 0x0
	v_add_f64_e32 v[18:19], v[40:41], v[32:33]
	v_add_f64_e32 v[20:21], v[26:27], v[46:47]
	v_add_f64_e64 v[22:23], v[34:35], -v[42:43]
	v_add_f64_e32 v[48:49], v[42:43], v[34:35]
	v_add_f64_e64 v[50:51], v[46:47], -v[26:27]
	s_mov_b32 s12, 0x134454ff
	s_mov_b32 s13, 0x3fee6f0e
	;; [unrolled: 1-line block ×4, first 2 shown]
	v_add_f64_e32 v[52:53], v[14:15], v[36:37]
	v_add_f64_e32 v[54:55], v[28:29], v[10:11]
	v_add_f64_e64 v[60:61], v[32:33], -v[40:41]
	v_add_f64_e64 v[62:63], v[32:33], -v[44:45]
	;; [unrolled: 1-line block ×6, first 2 shown]
	s_mov_b32 s6, 0x4755a5e
	s_mov_b32 s7, 0x3fe2cf23
	;; [unrolled: 1-line block ×3, first 2 shown]
	s_wait_alu 0xfffe
	s_mov_b32 s10, s6
	v_add_f64_e32 v[76:77], v[10:11], v[2:3]
	v_add_f64_e64 v[78:79], v[12:13], -v[30:31]
	v_add_f64_e64 v[80:81], v[38:39], -v[16:17]
	;; [unrolled: 1-line block ×5, first 2 shown]
	s_mov_b32 s14, 0x372fe950
	s_mov_b32 s15, 0x3fd3c6ef
	;; [unrolled: 1-line block ×4, first 2 shown]
	v_cmp_gt_u32_e64 s0, 54, v56
	v_fma_f64 v[0:1], v[0:1], -0.5, v[6:7]
	v_fma_f64 v[18:19], v[18:19], -0.5, v[6:7]
	;; [unrolled: 1-line block ×3, first 2 shown]
	v_add_f64_e32 v[6:7], v[32:33], v[6:7]
	v_fma_f64 v[48:49], v[48:49], -0.5, v[8:9]
	v_add_f64_e64 v[32:33], v[46:47], -v[34:35]
	v_fma_f64 v[52:53], v[52:53], -0.5, v[2:3]
	v_fma_f64 v[2:3], v[54:55], -0.5, v[2:3]
	v_add_f64_e32 v[54:55], v[64:65], v[62:63]
	v_add_f64_e32 v[62:63], v[68:69], v[66:67]
	;; [unrolled: 1-line block ×3, first 2 shown]
	v_fma_f64 v[72:73], v[22:23], s[12:13], v[0:1]
	v_fma_f64 v[74:75], v[50:51], s[2:3], v[18:19]
	;; [unrolled: 1-line block ×8, first 2 shown]
	v_add_f64_e32 v[44:45], v[44:45], v[6:7]
	v_fma_f64 v[66:67], v[50:51], s[6:7], v[72:73]
	v_fma_f64 v[68:69], v[22:23], s[6:7], v[74:75]
	;; [unrolled: 1-line block ×4, first 2 shown]
	v_add_f64_e64 v[22:23], v[10:11], -v[36:37]
	v_add_f64_e64 v[50:51], v[28:29], -v[14:15]
	;; [unrolled: 1-line block ×3, first 2 shown]
	v_add_f64_e32 v[74:75], v[84:85], v[82:83]
	v_add_f64_e64 v[82:83], v[14:15], -v[28:29]
	v_add_f64_e32 v[84:85], v[86:87], v[32:33]
	v_fma_f64 v[86:87], v[78:79], s[12:13], v[52:53]
	v_fma_f64 v[52:53], v[78:79], s[2:3], v[52:53]
	;; [unrolled: 1-line block ×8, first 2 shown]
	v_add_f64_e32 v[24:25], v[24:25], v[44:45]
	s_wait_alu 0xfffe
	v_fma_f64 v[66:67], v[54:55], s[14:15], v[66:67]
	v_fma_f64 v[64:65], v[62:63], s[14:15], v[68:69]
	;; [unrolled: 1-line block ×4, first 2 shown]
	v_add_f64_e32 v[0:1], v[50:51], v[22:23]
	v_add_f64_e32 v[22:23], v[14:15], v[76:77]
	;; [unrolled: 1-line block ×3, first 2 shown]
	v_fma_f64 v[44:45], v[80:81], s[6:7], v[86:87]
	v_fma_f64 v[50:51], v[80:81], s[10:11], v[52:53]
	;; [unrolled: 1-line block ×8, first 2 shown]
	v_add_f64_e32 v[24:25], v[40:41], v[24:25]
	v_mul_f64_e32 v[20:21], s[16:17], v[66:67]
	v_mul_f64_e32 v[48:49], s[14:15], v[64:65]
	;; [unrolled: 1-line block ×4, first 2 shown]
	v_add_f64_e32 v[22:23], v[28:29], v[22:23]
	v_fma_f64 v[40:41], v[0:1], s[14:15], v[44:45]
	v_fma_f64 v[44:45], v[0:1], s[14:15], v[50:51]
	;; [unrolled: 1-line block ×6, first 2 shown]
	v_fma_f64 v[76:77], v[70:71], s[12:13], -v[54:55]
	v_fma_f64 v[72:73], v[68:69], s[6:7], -v[72:73]
	v_add_f64_e32 v[18:19], v[24:25], v[22:23]
	v_add_f64_e64 v[24:25], v[22:23], -v[24:25]
	v_add_f64_e32 v[20:21], v[40:41], v[52:53]
	v_add_f64_e32 v[48:49], v[0:1], v[74:75]
	;; [unrolled: 1-line block ×4, first 2 shown]
	v_add_f64_e64 v[52:53], v[40:41], -v[52:53]
	v_add_f64_e64 v[54:55], v[0:1], -v[74:75]
	;; [unrolled: 1-line block ×4, first 2 shown]
	v_mul_u32_u24_e32 v40, 10, v56
                                        ; implicit-def: $vgpr44_vgpr45
	s_delay_alu instid0(VALU_DEP_1)
	v_lshl_add_u32 v72, v40, 3, 0
	ds_store_b128 v72, v[18:21]
	ds_store_b128 v72, v[48:51] offset:16
	ds_store_b128 v72, v[22:25] offset:32
	;; [unrolled: 1-line block ×4, first 2 shown]
	v_mad_i32_i24 v57, 0xffffffb8, v56, v72
	global_wb scope:SCOPE_SE
	s_wait_dscnt 0x0
	s_barrier_signal -1
	s_barrier_wait -1
	global_inv scope:SCOPE_SE
	v_add_nc_u32_e32 v73, 0xa00, v57
	v_add_nc_u32_e32 v74, 0x2000, v57
	;; [unrolled: 1-line block ×3, first 2 shown]
	ds_load_2addr_b64 v[22:25], v57 offset1:162
	ds_load_2addr_b64 v[18:21], v73 offset0:4 offset1:220
	ds_load_2addr_b64 v[52:55], v74 offset0:56 offset1:218
	;; [unrolled: 1-line block ×3, first 2 shown]
	ds_load_b64 v[40:41], v57 offset:11232
                                        ; implicit-def: $vgpr0_vgpr1
	s_and_saveexec_b32 s1, s0
	s_cbranch_execz .LBB0_13
; %bb.12:
	ds_load_b64 v[2:3], v57 offset:3888
	ds_load_b64 v[44:45], v57 offset:8208
	;; [unrolled: 1-line block ×3, first 2 shown]
.LBB0_13:
	s_wait_alu 0xfffe
	s_or_b32 exec_lo, exec_lo, s1
	v_add_f64_e32 v[76:77], v[16:17], v[38:39]
	v_add_f64_e32 v[78:79], v[30:31], v[12:13]
	v_add_f64_e32 v[80:81], v[12:13], v[4:5]
	v_add_f64_e64 v[10:11], v[10:11], -v[28:29]
	v_add_f64_e32 v[8:9], v[34:35], v[8:9]
	v_add_f64_e64 v[14:15], v[36:37], -v[14:15]
	v_add_f64_e64 v[34:35], v[12:13], -v[38:39]
	;; [unrolled: 1-line block ×4, first 2 shown]
	v_mul_f64_e32 v[66:67], s[10:11], v[66:67]
	v_mul_f64_e32 v[64:65], s[2:3], v[64:65]
	;; [unrolled: 1-line block ×4, first 2 shown]
	global_wb scope:SCOPE_SE
	s_wait_dscnt 0x0
	s_barrier_signal -1
	s_barrier_wait -1
	global_inv scope:SCOPE_SE
	v_fma_f64 v[28:29], v[76:77], -0.5, v[4:5]
	v_fma_f64 v[4:5], v[78:79], -0.5, v[4:5]
	v_add_f64_e32 v[38:39], v[38:39], v[80:81]
	v_add_f64_e32 v[8:9], v[46:47], v[8:9]
	v_add_f64_e64 v[46:47], v[16:17], -v[30:31]
	v_add_f64_e32 v[34:35], v[36:37], v[34:35]
	v_fma_f64 v[6:7], v[6:7], s[10:11], -v[68:69]
	v_fma_f64 v[76:77], v[10:11], s[2:3], v[28:29]
	v_fma_f64 v[78:79], v[14:15], s[12:13], v[4:5]
	;; [unrolled: 1-line block ×4, first 2 shown]
	v_add_f64_e32 v[16:17], v[16:17], v[38:39]
	v_add_f64_e32 v[8:9], v[26:27], v[8:9]
	;; [unrolled: 1-line block ×3, first 2 shown]
	v_fma_f64 v[38:39], v[60:61], s[16:17], v[66:67]
	v_fma_f64 v[46:47], v[62:63], s[14:15], v[64:65]
	v_fma_f64 v[60:61], v[32:33], s[2:3], -v[70:71]
	v_fma_f64 v[26:27], v[14:15], s[10:11], v[76:77]
	v_fma_f64 v[36:37], v[10:11], s[10:11], v[78:79]
	;; [unrolled: 1-line block ×4, first 2 shown]
	v_add_f64_e32 v[14:15], v[30:31], v[16:17]
	v_add_f64_e32 v[16:17], v[42:43], v[8:9]
	v_fma_f64 v[30:31], v[34:35], s[14:15], v[26:27]
	v_fma_f64 v[32:33], v[12:13], s[14:15], v[36:37]
	;; [unrolled: 1-line block ×4, first 2 shown]
	v_add_f64_e32 v[8:9], v[16:17], v[14:15]
	v_add_f64_e64 v[14:15], v[14:15], -v[16:17]
                                        ; implicit-def: $vgpr16_vgpr17
	v_add_f64_e32 v[10:11], v[30:31], v[38:39]
	v_add_f64_e32 v[26:27], v[32:33], v[46:47]
	;; [unrolled: 1-line block ×4, first 2 shown]
	v_add_f64_e64 v[30:31], v[30:31], -v[38:39]
	v_add_f64_e64 v[32:33], v[32:33], -v[46:47]
	;; [unrolled: 1-line block ×4, first 2 shown]
	ds_store_b128 v72, v[8:11]
	ds_store_b128 v72, v[26:29] offset:16
	ds_store_b128 v72, v[12:15] offset:32
	;; [unrolled: 1-line block ×4, first 2 shown]
	global_wb scope:SCOPE_SE
	s_wait_dscnt 0x0
	s_barrier_signal -1
	s_barrier_wait -1
	global_inv scope:SCOPE_SE
	ds_load_2addr_b64 v[12:15], v57 offset1:162
	ds_load_2addr_b64 v[8:11], v73 offset0:4 offset1:220
	ds_load_2addr_b64 v[30:33], v74 offset0:56 offset1:218
	;; [unrolled: 1-line block ×3, first 2 shown]
	ds_load_b64 v[34:35], v57 offset:11232
                                        ; implicit-def: $vgpr4_vgpr5
	s_and_saveexec_b32 s1, s0
	s_cbranch_execz .LBB0_15
; %bb.14:
	ds_load_b64 v[6:7], v57 offset:3888
	ds_load_b64 v[16:17], v57 offset:8208
	;; [unrolled: 1-line block ×3, first 2 shown]
.LBB0_15:
	s_wait_alu 0xfffe
	s_or_b32 exec_lo, exec_lo, s1
	v_add_nc_u32_e32 v78, 0xa2, v56
	v_and_b32_e32 v72, 0xff, v56
	v_add_nc_u32_e32 v77, 0x144, v56
	v_add_nc_u32_e32 v76, 0x1e6, v56
	s_mov_b32 s2, 0xe8584caa
	v_and_b32_e32 v70, 0xffff, v78
	v_mul_lo_u16 v36, 0xcd, v72
	v_and_b32_e32 v73, 0xffff, v77
	v_and_b32_e32 v71, 0xffff, v76
	s_mov_b32 s3, 0x3febb67a
	v_mul_u32_u24_e32 v37, 0xcccd, v70
	v_lshrrev_b16 v74, 11, v36
	s_mov_b32 s7, 0xbfebb67a
	v_mul_u32_u24_e32 v69, 0xcccd, v71
	s_wait_alu 0xfffe
	s_mov_b32 s6, s2
	v_lshrrev_b32_e32 v75, 19, v37
	v_mul_lo_u16 v36, v74, 10
	v_lshrrev_b32_e32 v99, 19, v69
	s_delay_alu instid0(VALU_DEP_3) | instskip(NEXT) | instid1(VALU_DEP_3)
	v_mul_lo_u16 v37, v75, 10
	v_sub_nc_u16 v36, v56, v36
	s_delay_alu instid0(VALU_DEP_3) | instskip(NEXT) | instid1(VALU_DEP_3)
	v_mul_lo_u16 v69, v99, 10
	v_sub_nc_u16 v37, v78, v37
	s_delay_alu instid0(VALU_DEP_3) | instskip(NEXT) | instid1(VALU_DEP_3)
	v_and_b32_e32 v95, 0xff, v36
	v_sub_nc_u16 v69, v76, v69
	s_delay_alu instid0(VALU_DEP_3) | instskip(NEXT) | instid1(VALU_DEP_3)
	v_and_b32_e32 v96, 0xffff, v37
	v_lshlrev_b32_e32 v42, 5, v95
	s_delay_alu instid0(VALU_DEP_3) | instskip(NEXT) | instid1(VALU_DEP_3)
	v_and_b32_e32 v100, 0xffff, v69
	v_lshlrev_b32_e32 v43, 5, v96
	s_clause 0x2
	global_load_b128 v[36:39], v42, s[4:5] offset:16
	global_load_b128 v[60:63], v43, s[4:5] offset:16
	global_load_b128 v[64:67], v42, s[4:5]
	v_mul_u32_u24_e32 v42, 0xcccd, v73
	global_load_b128 v[79:82], v43, s[4:5]
	v_lshlrev_b32_e32 v69, 5, v100
	v_lshrrev_b32_e32 v97, 19, v42
	s_clause 0x1
	global_load_b128 v[91:94], v69, s[4:5] offset:16
	global_load_b128 v[87:90], v69, s[4:5]
	v_mul_lo_u16 v42, v97, 10
	s_delay_alu instid0(VALU_DEP_1) | instskip(NEXT) | instid1(VALU_DEP_1)
	v_sub_nc_u16 v42, v77, v42
	v_and_b32_e32 v98, 0xffff, v42
	s_delay_alu instid0(VALU_DEP_1)
	v_lshlrev_b32_e32 v68, 5, v98
	global_load_b128 v[83:86], v68, s[4:5]
	s_wait_loadcnt_dscnt 0x602
	v_mul_f64_e32 v[42:43], v[30:31], v[38:39]
	v_mul_f64_e32 v[38:39], v[52:53], v[38:39]
	s_wait_loadcnt 0x5
	v_mul_f64_e32 v[46:47], v[32:33], v[62:63]
	v_mul_f64_e32 v[62:63], v[54:55], v[62:63]
	s_delay_alu instid0(VALU_DEP_4) | instskip(NEXT) | instid1(VALU_DEP_4)
	v_fma_f64 v[52:53], v[52:53], v[36:37], -v[42:43]
	v_fma_f64 v[42:43], v[30:31], v[36:37], v[38:39]
	global_load_b128 v[36:39], v68, s[4:5] offset:16
	s_wait_loadcnt 0x5
	v_mul_f64_e32 v[30:31], v[10:11], v[66:67]
	v_fma_f64 v[46:47], v[54:55], v[60:61], -v[46:47]
	v_fma_f64 v[32:33], v[32:33], v[60:61], v[62:63]
	v_mul_f64_e32 v[60:61], v[20:21], v[66:67]
	s_wait_loadcnt_dscnt 0x401
	v_mul_f64_e32 v[62:63], v[26:27], v[81:82]
	s_wait_loadcnt_dscnt 0x300
	v_mul_f64_e32 v[66:67], v[4:5], v[93:94]
	global_wb scope:SCOPE_SE
	s_wait_loadcnt 0x0
	s_barrier_signal -1
	s_barrier_wait -1
	global_inv scope:SCOPE_SE
	v_fma_f64 v[54:55], v[20:21], v[64:65], -v[30:31]
	v_mul_f64_e32 v[20:21], v[48:49], v[81:82]
	v_mul_f64_e32 v[30:31], v[28:29], v[85:86]
	v_fma_f64 v[60:61], v[10:11], v[64:65], v[60:61]
	v_fma_f64 v[10:11], v[48:49], v[79:80], -v[62:63]
	s_delay_alu instid0(VALU_DEP_4) | instskip(NEXT) | instid1(VALU_DEP_4)
	v_fma_f64 v[62:63], v[26:27], v[79:80], v[20:21]
	v_fma_f64 v[48:49], v[50:51], v[83:84], -v[30:31]
	v_mul_f64_e32 v[30:31], v[50:51], v[85:86]
	v_mul_f64_e32 v[26:27], v[16:17], v[89:90]
	s_delay_alu instid0(VALU_DEP_1)
	v_fma_f64 v[64:65], v[44:45], v[87:88], -v[26:27]
	v_mul_f64_e32 v[26:27], v[44:45], v[89:90]
	v_fma_f64 v[44:45], v[0:1], v[91:92], -v[66:67]
	v_fma_f64 v[66:67], v[28:29], v[83:84], v[30:31]
	v_add_f64_e32 v[28:29], v[54:55], v[52:53]
	v_add_f64_e32 v[30:31], v[22:23], v[54:55]
	v_fma_f64 v[68:69], v[16:17], v[87:88], v[26:27]
	v_add_f64_e32 v[26:27], v[64:65], v[44:45]
	s_delay_alu instid0(VALU_DEP_4) | instskip(SKIP_2) | instid1(VALU_DEP_1)
	v_fma_f64 v[22:23], v[28:29], -0.5, v[22:23]
	v_add_f64_e64 v[28:29], v[62:63], -v[32:33]
	v_mul_f64_e32 v[20:21], v[34:35], v[38:39]
	v_fma_f64 v[50:51], v[40:41], v[36:37], -v[20:21]
	v_mul_f64_e32 v[20:21], v[40:41], v[38:39]
	v_mul_f64_e32 v[38:39], v[0:1], v[93:94]
	v_add_f64_e32 v[40:41], v[2:3], v[64:65]
	v_fma_f64 v[2:3], v[26:27], -0.5, v[2:3]
	v_add_f64_e32 v[26:27], v[30:31], v[52:53]
	v_add_f64_e32 v[16:17], v[48:49], v[50:51]
	v_fma_f64 v[0:1], v[34:35], v[36:37], v[20:21]
	v_fma_f64 v[4:5], v[4:5], v[91:92], v[38:39]
	v_add_f64_e32 v[20:21], v[10:11], v[46:47]
	v_add_f64_e64 v[36:37], v[60:61], -v[42:43]
	v_add_f64_e32 v[34:35], v[24:25], v[10:11]
	v_add_f64_e32 v[38:39], v[18:19], v[48:49]
	v_fma_f64 v[16:17], v[16:17], -0.5, v[18:19]
	v_add_f64_e64 v[18:19], v[68:69], -v[4:5]
	v_fma_f64 v[20:21], v[20:21], -0.5, v[24:25]
	v_add_f64_e64 v[24:25], v[66:67], -v[0:1]
	v_add_f64_e32 v[30:31], v[34:35], v[46:47]
	v_add_f64_e32 v[81:82], v[38:39], v[50:51]
	;; [unrolled: 1-line block ×3, first 2 shown]
	v_fma_f64 v[40:41], v[36:37], s[2:3], v[22:23]
	s_wait_alu 0xfffe
	v_fma_f64 v[22:23], v[36:37], s[6:7], v[22:23]
	v_fma_f64 v[36:37], v[18:19], s[2:3], v[2:3]
	v_fma_f64 v[38:39], v[18:19], s[6:7], v[2:3]
	v_fma_f64 v[83:84], v[28:29], s[2:3], v[20:21]
	v_fma_f64 v[20:21], v[28:29], s[6:7], v[20:21]
	v_fma_f64 v[28:29], v[24:25], s[2:3], v[16:17]
	v_fma_f64 v[16:17], v[24:25], s[6:7], v[16:17]
	v_and_b32_e32 v2, 0xffff, v74
	v_lshlrev_b32_e32 v18, 3, v95
	v_mul_u32_u24_e32 v19, 0xf0, v75
	v_mul_u32_u24_e32 v24, 0xf0, v97
	v_lshlrev_b32_e32 v25, 3, v98
	v_mul_u32_u24_e32 v3, 0xf0, v2
	v_mul_lo_u16 v2, v99, 30
	s_delay_alu instid0(VALU_DEP_3) | instskip(NEXT) | instid1(VALU_DEP_3)
	v_add3_u32 v80, 0, v24, v25
	v_add3_u32 v74, 0, v3, v18
	v_lshlrev_b32_e32 v18, 3, v96
	v_lshlrev_b32_e32 v3, 3, v100
	s_delay_alu instid0(VALU_DEP_2)
	v_add3_u32 v75, 0, v19, v18
	ds_store_2addr_b64 v74, v[26:27], v[40:41] offset1:10
	ds_store_b64 v74, v[22:23] offset:160
	ds_store_2addr_b64 v75, v[30:31], v[83:84] offset1:10
	ds_store_b64 v75, v[20:21] offset:160
	;; [unrolled: 2-line block ×3, first 2 shown]
	s_and_saveexec_b32 s1, s0
	s_cbranch_execz .LBB0_17
; %bb.16:
	v_and_b32_e32 v16, 0xffff, v2
	s_delay_alu instid0(VALU_DEP_1) | instskip(NEXT) | instid1(VALU_DEP_1)
	v_lshlrev_b32_e32 v16, 3, v16
	v_add3_u32 v16, 0, v3, v16
	ds_store_2addr_b64 v16, v[34:35], v[36:37] offset1:10
	ds_store_b64 v16, v[38:39] offset:160
.LBB0_17:
	s_wait_alu 0xfffe
	s_or_b32 exec_lo, exec_lo, s1
	v_add_nc_u32_e32 v16, 0xa00, v57
	v_add_nc_u32_e32 v24, 0x2000, v57
	;; [unrolled: 1-line block ×3, first 2 shown]
	global_wb scope:SCOPE_SE
	s_wait_dscnt 0x0
	s_barrier_signal -1
	s_barrier_wait -1
	global_inv scope:SCOPE_SE
	ds_load_2addr_b64 v[20:23], v57 offset1:162
	ds_load_2addr_b64 v[16:19], v16 offset0:4 offset1:220
	ds_load_2addr_b64 v[28:31], v24 offset0:56 offset1:218
	;; [unrolled: 1-line block ×3, first 2 shown]
	ds_load_b64 v[40:41], v57 offset:11232
	v_lshl_add_u32 v79, v56, 3, 0
	s_and_saveexec_b32 s1, s0
	s_cbranch_execz .LBB0_19
; %bb.18:
	ds_load_b64 v[36:37], v57 offset:8208
	ds_load_b64 v[34:35], v79 offset:3888
	;; [unrolled: 1-line block ×3, first 2 shown]
.LBB0_19:
	s_wait_alu 0xfffe
	s_or_b32 exec_lo, exec_lo, s1
	v_add_f64_e32 v[81:82], v[60:61], v[42:43]
	v_add_f64_e32 v[87:88], v[68:69], v[4:5]
	v_add_f64_e32 v[83:84], v[62:63], v[32:33]
	v_add_f64_e32 v[85:86], v[66:67], v[0:1]
	v_add_f64_e32 v[60:61], v[12:13], v[60:61]
	v_add_f64_e64 v[52:53], v[54:55], -v[52:53]
	v_add_f64_e32 v[54:55], v[14:15], v[62:63]
	v_add_f64_e32 v[62:63], v[8:9], v[66:67]
	;; [unrolled: 1-line block ×3, first 2 shown]
	v_add_f64_e64 v[10:11], v[10:11], -v[46:47]
	v_add_f64_e64 v[46:47], v[48:49], -v[50:51]
	;; [unrolled: 1-line block ×3, first 2 shown]
	s_mov_b32 s2, 0xe8584caa
	s_mov_b32 s3, 0xbfebb67a
	;; [unrolled: 1-line block ×3, first 2 shown]
	s_wait_alu 0xfffe
	s_mov_b32 s6, s2
	global_wb scope:SCOPE_SE
	s_wait_dscnt 0x0
	s_barrier_signal -1
	s_barrier_wait -1
	global_inv scope:SCOPE_SE
	v_fma_f64 v[12:13], v[81:82], -0.5, v[12:13]
	v_fma_f64 v[6:7], v[87:88], -0.5, v[6:7]
	;; [unrolled: 1-line block ×4, first 2 shown]
	v_add_f64_e32 v[50:51], v[60:61], v[42:43]
	v_add_f64_e32 v[54:55], v[54:55], v[32:33]
	;; [unrolled: 1-line block ×4, first 2 shown]
	v_fma_f64 v[4:5], v[52:53], s[2:3], v[12:13]
	v_fma_f64 v[44:45], v[48:49], s[2:3], v[6:7]
	s_wait_alu 0xfffe
	v_fma_f64 v[42:43], v[48:49], s[6:7], v[6:7]
	v_fma_f64 v[12:13], v[52:53], s[6:7], v[12:13]
	;; [unrolled: 1-line block ×6, first 2 shown]
	ds_store_2addr_b64 v74, v[50:51], v[4:5] offset1:10
	ds_store_b64 v74, v[12:13] offset:160
	ds_store_2addr_b64 v75, v[54:55], v[52:53] offset1:10
	ds_store_b64 v75, v[10:11] offset:160
	;; [unrolled: 2-line block ×3, first 2 shown]
	s_and_saveexec_b32 s1, s0
	s_cbranch_execz .LBB0_21
; %bb.20:
	v_and_b32_e32 v0, 0xffff, v2
	s_delay_alu instid0(VALU_DEP_1) | instskip(NEXT) | instid1(VALU_DEP_1)
	v_lshlrev_b32_e32 v0, 3, v0
	v_add3_u32 v0, 0, v3, v0
	ds_store_2addr_b64 v0, v[32:33], v[44:45] offset1:10
	ds_store_b64 v0, v[42:43] offset:160
.LBB0_21:
	s_wait_alu 0xfffe
	s_or_b32 exec_lo, exec_lo, s1
	v_add_nc_u32_e32 v0, 0xa00, v57
	v_add_nc_u32_e32 v8, 0x2000, v57
	;; [unrolled: 1-line block ×3, first 2 shown]
	global_wb scope:SCOPE_SE
	s_wait_dscnt 0x0
	s_barrier_signal -1
	s_barrier_wait -1
	global_inv scope:SCOPE_SE
	ds_load_2addr_b64 v[4:7], v57 offset1:162
	ds_load_2addr_b64 v[0:3], v0 offset0:4 offset1:220
	ds_load_2addr_b64 v[12:15], v8 offset0:56 offset1:218
	;; [unrolled: 1-line block ×3, first 2 shown]
	ds_load_b64 v[46:47], v57 offset:11232
	s_and_saveexec_b32 s1, s0
	s_cbranch_execz .LBB0_23
; %bb.22:
	ds_load_b64 v[44:45], v57 offset:8208
	ds_load_b64 v[32:33], v79 offset:3888
	;; [unrolled: 1-line block ×3, first 2 shown]
.LBB0_23:
	s_wait_alu 0xfffe
	s_or_b32 exec_lo, exec_lo, s1
	v_mul_lo_u16 v48, 0x89, v72
	v_mul_u32_u24_e32 v49, 0x8889, v70
	v_mul_u32_u24_e32 v50, 0x8889, v73
	s_mov_b32 s2, 0xe8584caa
	s_mov_b32 s3, 0x3febb67a
	v_lshrrev_b16 v75, 12, v48
	v_mul_u32_u24_e32 v48, 0x8889, v71
	v_lshrrev_b32_e32 v110, 20, v49
	v_lshrrev_b32_e32 v111, 20, v50
	s_mov_b32 s7, 0xbfebb67a
	v_mul_lo_u16 v49, v75, 30
	v_lshrrev_b32_e32 v112, 20, v48
	v_mul_lo_u16 v50, v110, 30
	v_mul_lo_u16 v48, v111, 30
	s_wait_alu 0xfffe
	s_mov_b32 s6, s2
	v_sub_nc_u16 v49, v56, v49
	v_mul_lo_u16 v51, v112, 30
	v_sub_nc_u16 v50, v78, v50
	v_sub_nc_u16 v48, v77, v48
	s_delay_alu instid0(VALU_DEP_4) | instskip(NEXT) | instid1(VALU_DEP_4)
	v_and_b32_e32 v113, 0xff, v49
	v_sub_nc_u16 v49, v76, v51
	s_delay_alu instid0(VALU_DEP_4) | instskip(NEXT) | instid1(VALU_DEP_4)
	v_and_b32_e32 v114, 0xffff, v50
	v_and_b32_e32 v115, 0xffff, v48
	s_delay_alu instid0(VALU_DEP_4) | instskip(NEXT) | instid1(VALU_DEP_4)
	v_lshlrev_b32_e32 v48, 5, v113
	v_and_b32_e32 v116, 0xffff, v49
	s_delay_alu instid0(VALU_DEP_4) | instskip(NEXT) | instid1(VALU_DEP_4)
	v_lshlrev_b32_e32 v50, 5, v114
	v_lshlrev_b32_e32 v49, 5, v115
	s_clause 0x1
	global_load_b128 v[64:67], v48, s[4:5] offset:336
	global_load_b128 v[71:74], v50, s[4:5] offset:336
	v_lshlrev_b32_e32 v51, 5, v116
	s_clause 0x5
	global_load_b128 v[80:83], v48, s[4:5] offset:320
	global_load_b128 v[84:87], v50, s[4:5] offset:320
	global_load_b128 v[88:91], v49, s[4:5] offset:320
	global_load_b128 v[92:95], v49, s[4:5] offset:336
	global_load_b128 v[96:99], v51, s[4:5] offset:320
	global_load_b128 v[100:103], v51, s[4:5] offset:336
	global_wb scope:SCOPE_SE
	s_wait_loadcnt_dscnt 0x0
	s_barrier_signal -1
	s_barrier_wait -1
	global_inv scope:SCOPE_SE
	v_mul_f64_e32 v[54:55], v[2:3], v[82:83]
	v_mul_f64_e32 v[60:61], v[8:9], v[86:87]
	;; [unrolled: 1-line block ×14, first 2 shown]
	v_fma_f64 v[62:63], v[18:19], v[80:81], -v[54:55]
	v_fma_f64 v[54:55], v[24:25], v[84:85], -v[60:61]
	;; [unrolled: 1-line block ×4, first 2 shown]
	v_mul_f64_e32 v[28:29], v[36:37], v[98:99]
	v_mul_f64_e32 v[30:31], v[38:39], v[102:103]
	v_fma_f64 v[52:53], v[26:27], v[88:89], -v[68:69]
	v_fma_f64 v[60:61], v[40:41], v[92:93], -v[104:105]
	v_fma_f64 v[40:41], v[36:37], v[96:97], -v[106:107]
	v_fma_f64 v[38:39], v[38:39], v[100:101], -v[108:109]
	v_fma_f64 v[18:19], v[12:13], v[64:65], v[66:67]
	v_fma_f64 v[36:37], v[14:15], v[71:72], v[73:74]
	;; [unrolled: 1-line block ×6, first 2 shown]
	v_add_f64_e32 v[14:15], v[20:21], v[62:63]
	v_add_f64_e32 v[26:27], v[22:23], v[54:55]
	v_add_f64_e32 v[2:3], v[62:63], v[50:51]
	v_add_f64_e32 v[8:9], v[54:55], v[48:49]
	v_fma_f64 v[44:45], v[44:45], v[96:97], v[28:29]
	v_fma_f64 v[42:43], v[42:43], v[100:101], v[30:31]
	v_add_f64_e32 v[28:29], v[16:17], v[52:53]
	v_add_f64_e32 v[10:11], v[52:53], v[60:61]
	;; [unrolled: 1-line block ×4, first 2 shown]
	v_add_f64_e64 v[24:25], v[64:65], -v[18:19]
	v_add_f64_e64 v[71:72], v[66:67], -v[36:37]
	v_add_f64_e32 v[14:15], v[14:15], v[50:51]
	v_add_f64_e32 v[80:81], v[26:27], v[48:49]
	v_fma_f64 v[20:21], v[2:3], -0.5, v[20:21]
	v_fma_f64 v[8:9], v[8:9], -0.5, v[22:23]
	v_add_f64_e64 v[22:23], v[68:69], -v[46:47]
	v_add_f64_e32 v[2:3], v[28:29], v[60:61]
	v_fma_f64 v[10:11], v[10:11], -0.5, v[16:17]
	v_add_f64_e64 v[16:17], v[44:45], -v[42:43]
	v_fma_f64 v[34:35], v[12:13], -0.5, v[34:35]
	v_add_f64_e32 v[26:27], v[30:31], v[38:39]
	v_fma_f64 v[30:31], v[24:25], s[2:3], v[20:21]
	s_wait_alu 0xfffe
	v_fma_f64 v[20:21], v[24:25], s[6:7], v[20:21]
	v_fma_f64 v[24:25], v[71:72], s[2:3], v[8:9]
	;; [unrolled: 1-line block ×3, first 2 shown]
	v_mul_lo_u16 v71, 0x5a, v112
	v_fma_f64 v[12:13], v[22:23], s[2:3], v[10:11]
	v_fma_f64 v[8:9], v[22:23], s[6:7], v[10:11]
	;; [unrolled: 1-line block ×4, first 2 shown]
	v_and_b32_e32 v16, 0xffff, v75
	v_mul_u32_u24_e32 v17, 0x2d0, v110
	v_mul_u32_u24_e32 v22, 0x2d0, v111
	v_lshlrev_b32_e32 v23, 3, v113
	v_lshlrev_b32_e32 v34, 3, v114
	v_mul_u32_u24_e32 v16, 0x2d0, v16
	v_lshlrev_b32_e32 v35, 3, v115
	v_lshlrev_b32_e32 v72, 3, v116
	s_delay_alu instid0(VALU_DEP_4) | instskip(NEXT) | instid1(VALU_DEP_4)
	v_add3_u32 v74, 0, v17, v34
	v_add3_u32 v73, 0, v16, v23
	s_delay_alu instid0(VALU_DEP_4)
	v_add3_u32 v75, 0, v22, v35
	ds_store_2addr_b64 v73, v[14:15], v[30:31] offset1:30
	ds_store_b64 v73, v[20:21] offset:480
	ds_store_2addr_b64 v74, v[80:81], v[24:25] offset1:30
	ds_store_b64 v74, v[82:83] offset:480
	;; [unrolled: 2-line block ×3, first 2 shown]
	s_and_saveexec_b32 s1, s0
	s_cbranch_execz .LBB0_25
; %bb.24:
	v_and_b32_e32 v14, 0xffff, v71
	s_delay_alu instid0(VALU_DEP_1) | instskip(NEXT) | instid1(VALU_DEP_1)
	v_lshlrev_b32_e32 v14, 3, v14
	v_add3_u32 v14, 0, v72, v14
	ds_store_2addr_b64 v14, v[26:27], v[10:11] offset1:30
	ds_store_b64 v14, v[28:29] offset:480
.LBB0_25:
	s_wait_alu 0xfffe
	s_or_b32 exec_lo, exec_lo, s1
	global_wb scope:SCOPE_SE
	s_wait_dscnt 0x0
	s_barrier_signal -1
	s_barrier_wait -1
	global_inv scope:SCOPE_SE
	ds_load_b64 v[14:15], v57
	ds_load_b64 v[24:25], v57 offset:2160
	ds_load_b64 v[20:21], v57 offset:4320
	;; [unrolled: 1-line block ×5, first 2 shown]
	v_cmp_gt_u32_e64 s1, 0x6c, v56
	s_delay_alu instid0(VALU_DEP_1)
	s_and_saveexec_b32 s2, s1
	s_cbranch_execz .LBB0_27
; %bb.26:
	ds_load_b64 v[2:3], v57 offset:1296
	ds_load_b64 v[12:13], v57 offset:3456
	;; [unrolled: 1-line block ×6, first 2 shown]
.LBB0_27:
	s_wait_alu 0xfffe
	s_or_b32 exec_lo, exec_lo, s2
	v_add_f64_e32 v[16:17], v[64:65], v[18:19]
	v_add_f64_e32 v[82:83], v[68:69], v[46:47]
	;; [unrolled: 1-line block ×5, first 2 shown]
	v_add_f64_e64 v[50:51], v[62:63], -v[50:51]
	v_add_f64_e32 v[62:63], v[6:7], v[66:67]
	v_add_f64_e32 v[66:67], v[0:1], v[68:69]
	;; [unrolled: 1-line block ×3, first 2 shown]
	v_add_f64_e64 v[52:53], v[52:53], -v[60:61]
	v_add_f64_e64 v[38:39], v[40:41], -v[38:39]
	;; [unrolled: 1-line block ×3, first 2 shown]
	s_mov_b32 s2, 0xe8584caa
	s_mov_b32 s3, 0xbfebb67a
	;; [unrolled: 1-line block ×3, first 2 shown]
	s_wait_alu 0xfffe
	s_mov_b32 s6, s2
	global_wb scope:SCOPE_SE
	s_wait_dscnt 0x0
	s_barrier_signal -1
	s_barrier_wait -1
	global_inv scope:SCOPE_SE
	v_fma_f64 v[4:5], v[16:17], -0.5, v[4:5]
	v_fma_f64 v[0:1], v[82:83], -0.5, v[0:1]
	;; [unrolled: 1-line block ×4, first 2 shown]
	v_add_f64_e32 v[18:19], v[64:65], v[18:19]
	v_add_f64_e32 v[40:41], v[62:63], v[36:37]
	;; [unrolled: 1-line block ×4, first 2 shown]
	v_fma_f64 v[46:47], v[50:51], s[2:3], v[4:5]
	s_wait_alu 0xfffe
	v_fma_f64 v[50:51], v[50:51], s[6:7], v[4:5]
	v_fma_f64 v[36:37], v[52:53], s[2:3], v[0:1]
	;; [unrolled: 1-line block ×7, first 2 shown]
	ds_store_2addr_b64 v73, v[18:19], v[46:47] offset1:30
	ds_store_b64 v73, v[50:51] offset:480
	ds_store_2addr_b64 v74, v[40:41], v[54:55] offset1:30
	ds_store_b64 v74, v[6:7] offset:480
	;; [unrolled: 2-line block ×3, first 2 shown]
	s_and_saveexec_b32 s2, s0
	s_cbranch_execz .LBB0_29
; %bb.28:
	v_and_b32_e32 v6, 0xffff, v71
	s_delay_alu instid0(VALU_DEP_1) | instskip(NEXT) | instid1(VALU_DEP_1)
	v_lshlrev_b32_e32 v6, 3, v6
	v_add3_u32 v6, 0, v72, v6
	ds_store_2addr_b64 v6, v[42:43], v[4:5] offset1:30
	ds_store_b64 v6, v[44:45] offset:480
.LBB0_29:
	s_wait_alu 0xfffe
	s_or_b32 exec_lo, exec_lo, s2
	global_wb scope:SCOPE_SE
	s_wait_dscnt 0x0
	s_barrier_signal -1
	s_barrier_wait -1
	global_inv scope:SCOPE_SE
	ds_load_b64 v[18:19], v57
	ds_load_b64 v[38:39], v57 offset:2160
	ds_load_b64 v[6:7], v57 offset:4320
	;; [unrolled: 1-line block ×5, first 2 shown]
	s_and_saveexec_b32 s2, s1
	s_cbranch_execz .LBB0_31
; %bb.30:
	ds_load_b64 v[16:17], v57 offset:1296
	ds_load_b64 v[36:37], v57 offset:3456
	;; [unrolled: 1-line block ×6, first 2 shown]
.LBB0_31:
	s_wait_alu 0xfffe
	s_or_b32 exec_lo, exec_lo, s2
	v_mul_u32_u24_e32 v46, 0x2d83, v70
	v_cmp_gt_u32_e64 s2, 0x5a, v56
	s_mov_b32 s7, 0xbfebb67a
	v_mov_b32_e32 v47, 0
	s_delay_alu instid0(VALU_DEP_3) | instskip(SKIP_1) | instid1(VALU_DEP_2)
	v_lshrrev_b32_e32 v110, 20, v46
	v_add_nc_u32_e32 v46, 0xffffffa6, v56
	v_mul_lo_u16 v50, 0x5a, v110
	s_wait_alu 0xf1ff
	s_delay_alu instid0(VALU_DEP_2) | instskip(NEXT) | instid1(VALU_DEP_2)
	v_cndmask_b32_e64 v111, v46, v56, s2
	v_sub_nc_u16 v50, v78, v50
	s_delay_alu instid0(VALU_DEP_2) | instskip(NEXT) | instid1(VALU_DEP_2)
	v_mul_i32_i24_e32 v46, 5, v111
	v_and_b32_e32 v112, 0xffff, v50
	s_delay_alu instid0(VALU_DEP_2) | instskip(NEXT) | instid1(VALU_DEP_2)
	v_lshlrev_b64_e32 v[46:47], 4, v[46:47]
	v_mul_u32_u24_e32 v50, 5, v112
	s_delay_alu instid0(VALU_DEP_2) | instskip(SKIP_1) | instid1(VALU_DEP_3)
	v_add_co_u32 v46, s2, s4, v46
	s_wait_alu 0xf1ff
	v_add_co_ci_u32_e64 v47, s2, s5, v47, s2
	s_delay_alu instid0(VALU_DEP_3)
	v_lshlrev_b32_e32 v54, 4, v50
	s_mov_b32 s2, 0xe8584caa
	s_clause 0x9
	global_load_b128 v[50:53], v[46:47], off offset:1312
	global_load_b128 v[60:63], v[46:47], off offset:1344
	global_load_b128 v[64:67], v54, s[4:5] offset:1312
	global_load_b128 v[68:71], v54, s[4:5] offset:1344
	global_load_b128 v[72:75], v[46:47], off offset:1280
	global_load_b128 v[80:83], v54, s[4:5] offset:1280
	global_load_b128 v[84:87], v[46:47], off offset:1296
	global_load_b128 v[88:91], v[46:47], off offset:1328
	global_load_b128 v[92:95], v54, s[4:5] offset:1296
	global_load_b128 v[96:99], v54, s[4:5] offset:1328
	s_mov_b32 s3, 0x3febb67a
	s_wait_alu 0xfffe
	s_mov_b32 s6, s2
	global_wb scope:SCOPE_SE
	s_wait_loadcnt_dscnt 0x0
	s_barrier_signal -1
	s_barrier_wait -1
	global_inv scope:SCOPE_SE
	v_mul_f64_e32 v[46:47], v[40:41], v[52:53]
	v_mul_f64_e32 v[52:53], v[34:35], v[52:53]
	;; [unrolled: 1-line block ×12, first 2 shown]
	v_fma_f64 v[34:35], v[34:35], v[50:51], -v[46:47]
	v_fma_f64 v[46:47], v[40:41], v[50:51], v[52:53]
	v_fma_f64 v[40:41], v[48:49], v[60:61], v[54:55]
	v_fma_f64 v[108:109], v[30:31], v[60:61], -v[62:63]
	v_fma_f64 v[100:101], v[26:27], v[64:65], -v[100:101]
	v_fma_f64 v[30:31], v[42:43], v[64:65], v[66:67]
	v_fma_f64 v[26:27], v[44:45], v[68:69], v[102:103]
	v_fma_f64 v[44:45], v[28:29], v[68:69], -v[70:71]
	v_mul_f64_e32 v[42:43], v[6:7], v[86:87]
	v_mul_f64_e32 v[48:49], v[32:33], v[90:91]
	;; [unrolled: 1-line block ×4, first 2 shown]
	v_fma_f64 v[68:69], v[24:25], v[72:73], -v[104:105]
	v_fma_f64 v[28:29], v[38:39], v[72:73], v[74:75]
	v_fma_f64 v[12:13], v[12:13], v[80:81], -v[106:107]
	v_fma_f64 v[24:25], v[36:37], v[80:81], v[82:83]
	v_mul_f64_e32 v[66:67], v[20:21], v[86:87]
	v_mul_f64_e32 v[70:71], v[22:23], v[90:91]
	;; [unrolled: 1-line block ×4, first 2 shown]
	v_add_f64_e32 v[38:39], v[46:47], v[40:41]
	v_add_f64_e32 v[54:55], v[34:35], v[108:109]
	;; [unrolled: 1-line block ×4, first 2 shown]
	v_fma_f64 v[60:61], v[20:21], v[84:85], -v[42:43]
	v_fma_f64 v[62:63], v[22:23], v[88:89], -v[48:49]
	v_fma_f64 v[20:21], v[8:9], v[92:93], -v[50:51]
	v_fma_f64 v[22:23], v[10:11], v[96:97], -v[52:53]
	v_add_f64_e64 v[8:9], v[46:47], -v[40:41]
	v_add_f64_e64 v[10:11], v[34:35], -v[108:109]
	;; [unrolled: 1-line block ×4, first 2 shown]
	v_fma_f64 v[66:67], v[6:7], v[84:85], v[66:67]
	v_add_f64_e32 v[34:35], v[68:69], v[34:35]
	v_fma_f64 v[42:43], v[4:5], v[96:97], v[74:75]
	v_fma_f64 v[80:81], v[38:39], -0.5, v[28:29]
	v_fma_f64 v[82:83], v[54:55], -0.5, v[68:69]
	v_fma_f64 v[38:39], v[32:33], v[88:89], v[70:71]
	v_fma_f64 v[36:37], v[36:37], -0.5, v[24:25]
	v_fma_f64 v[94:95], v[64:65], -0.5, v[12:13]
	v_fma_f64 v[64:65], v[0:1], v[92:93], v[72:73]
	v_add_f64_e32 v[0:1], v[60:61], v[62:63]
	v_add_f64_e32 v[6:7], v[14:15], v[60:61]
	;; [unrolled: 1-line block ×6, first 2 shown]
	s_wait_alu 0xfffe
	v_fma_f64 v[50:51], v[10:11], s[6:7], v[80:81]
	v_fma_f64 v[54:55], v[8:9], s[6:7], v[82:83]
	v_add_f64_e64 v[32:33], v[66:67], -v[38:39]
	v_fma_f64 v[72:73], v[8:9], s[2:3], v[82:83]
	v_fma_f64 v[48:49], v[90:91], s[6:7], v[36:37]
	;; [unrolled: 1-line block ×3, first 2 shown]
	v_add_f64_e64 v[88:89], v[64:65], -v[42:43]
	v_fma_f64 v[14:15], v[0:1], -0.5, v[14:15]
	v_fma_f64 v[74:75], v[10:11], s[2:3], v[80:81]
	v_fma_f64 v[4:5], v[4:5], -0.5, v[2:3]
	v_fma_f64 v[68:69], v[86:87], s[2:3], v[94:95]
	v_fma_f64 v[70:71], v[90:91], s[2:3], v[36:37]
	v_add_f64_e32 v[82:83], v[6:7], v[62:63]
	v_add_f64_e32 v[0:1], v[84:85], v[22:23]
	;; [unrolled: 1-line block ×3, first 2 shown]
	v_mul_f64_e32 v[8:9], s[2:3], v[50:51]
	v_mul_f64_e32 v[10:11], -0.5, v[54:55]
	v_mul_f64_e32 v[36:37], s[2:3], v[48:49]
	v_mul_f64_e32 v[80:81], -0.5, v[52:53]
	v_fma_f64 v[12:13], v[32:33], s[2:3], v[14:15]
	v_fma_f64 v[14:15], v[32:33], s[6:7], v[14:15]
	;; [unrolled: 1-line block ×4, first 2 shown]
	v_add_f64_e32 v[86:87], v[82:83], v[34:35]
	v_add_f64_e64 v[88:89], v[82:83], -v[34:35]
	v_add_f64_e64 v[32:33], v[0:1], -v[2:3]
	v_fma_f64 v[44:45], v[72:73], 0.5, v[8:9]
	v_fma_f64 v[84:85], v[74:75], s[2:3], v[10:11]
	v_fma_f64 v[10:11], v[68:69], 0.5, v[36:37]
	v_fma_f64 v[8:9], v[70:71], s[2:3], v[80:81]
	v_cmp_lt_u32_e64 s2, 0x59, v56
	v_mul_lo_u16 v81, 0x21c, v110
	v_lshlrev_b32_e32 v80, 3, v112
	v_add_f64_e32 v[90:91], v[12:13], v[44:45]
	v_add_f64_e32 v[92:93], v[14:15], v[84:85]
	v_add_f64_e64 v[12:13], v[12:13], -v[44:45]
	v_add_f64_e64 v[14:15], v[14:15], -v[84:85]
	;; [unrolled: 1-line block ×4, first 2 shown]
	s_wait_alu 0xf1ff
	v_cndmask_b32_e64 v44, 0, 0x10e0, s2
	v_lshlrev_b32_e32 v45, 3, v111
	s_delay_alu instid0(VALU_DEP_1) | instskip(NEXT) | instid1(VALU_DEP_1)
	v_add3_u32 v82, 0, v44, v45
	v_add_nc_u32_e32 v44, 0x400, v82
	v_add_nc_u32_e32 v45, 0x800, v82
	ds_store_2addr_b64 v82, v[86:87], v[90:91] offset1:90
	ds_store_2addr_b64 v44, v[92:93], v[88:89] offset0:52 offset1:142
	ds_store_2addr_b64 v45, v[12:13], v[14:15] offset0:104 offset1:194
	s_and_saveexec_b32 s2, s1
	s_cbranch_execz .LBB0_33
; %bb.32:
	v_add_f64_e32 v[6:7], v[6:7], v[10:11]
	v_add_f64_e32 v[0:1], v[0:1], v[2:3]
	;; [unrolled: 1-line block ×3, first 2 shown]
	v_and_b32_e32 v4, 0xffff, v81
	s_delay_alu instid0(VALU_DEP_1) | instskip(NEXT) | instid1(VALU_DEP_1)
	v_lshlrev_b32_e32 v4, 3, v4
	v_add3_u32 v4, 0, v80, v4
	s_delay_alu instid0(VALU_DEP_1)
	v_add_nc_u32_e32 v5, 0x400, v4
	v_add_nc_u32_e32 v8, 0x800, v4
	ds_store_2addr_b64 v4, v[0:1], v[6:7] offset1:90
	ds_store_2addr_b64 v5, v[2:3], v[32:33] offset0:52 offset1:142
	ds_store_2addr_b64 v8, v[34:35], v[36:37] offset0:104 offset1:194
.LBB0_33:
	s_wait_alu 0xfffe
	s_or_b32 exec_lo, exec_lo, s2
	v_add_nc_u32_e32 v0, 0xa00, v57
	v_add_nc_u32_e32 v8, 0x2000, v57
	;; [unrolled: 1-line block ×3, first 2 shown]
	global_wb scope:SCOPE_SE
	s_wait_dscnt 0x0
	s_barrier_signal -1
	s_barrier_wait -1
	global_inv scope:SCOPE_SE
	ds_load_2addr_b64 v[4:7], v57 offset1:162
	ds_load_2addr_b64 v[0:3], v0 offset0:4 offset1:220
	ds_load_2addr_b64 v[12:15], v8 offset0:56 offset1:218
	;; [unrolled: 1-line block ×3, first 2 shown]
	ds_load_b64 v[44:45], v57 offset:11232
	s_and_saveexec_b32 s2, s0
	s_cbranch_execz .LBB0_35
; %bb.34:
	ds_load_b64 v[34:35], v57 offset:8208
	ds_load_b64 v[32:33], v79 offset:3888
	;; [unrolled: 1-line block ×3, first 2 shown]
.LBB0_35:
	s_wait_alu 0xfffe
	s_or_b32 exec_lo, exec_lo, s2
	v_add_f64_e32 v[83:84], v[66:67], v[38:39]
	v_add_f64_e32 v[85:86], v[64:65], v[42:43]
	s_mov_b32 s2, 0xe8584caa
	s_mov_b32 s3, 0xbfebb67a
	v_add_f64_e32 v[66:67], v[18:19], v[66:67]
	v_add_f64_e64 v[60:61], v[60:61], -v[62:63]
	v_add_f64_e32 v[28:29], v[28:29], v[46:47]
	v_mul_f64_e32 v[46:47], -0.5, v[74:75]
	v_add_f64_e32 v[62:63], v[16:17], v[64:65]
	v_add_f64_e32 v[24:25], v[24:25], v[30:31]
	s_wait_alu 0xfffe
	v_mul_f64_e32 v[30:31], s[2:3], v[72:73]
	v_add_f64_e64 v[72:73], v[20:21], -v[22:23]
	v_mul_f64_e32 v[20:21], -0.5, v[70:71]
	v_mul_f64_e32 v[22:23], s[2:3], v[68:69]
	s_mov_b32 s7, 0x3febb67a
	s_mov_b32 s6, s2
	global_wb scope:SCOPE_SE
	s_wait_dscnt 0x0
	s_barrier_signal -1
	s_barrier_wait -1
	global_inv scope:SCOPE_SE
	v_fma_f64 v[64:65], v[83:84], -0.5, v[18:19]
	v_fma_f64 v[68:69], v[85:86], -0.5, v[16:17]
	v_add_f64_e32 v[38:39], v[66:67], v[38:39]
	v_add_f64_e32 v[28:29], v[28:29], v[40:41]
	v_fma_f64 v[40:41], v[54:55], s[2:3], v[46:47]
	v_add_f64_e32 v[16:17], v[62:63], v[42:43]
	v_add_f64_e32 v[18:19], v[24:25], v[26:27]
	v_fma_f64 v[30:31], v[50:51], 0.5, v[30:31]
	v_add_nc_u32_e32 v54, 0x400, v82
	v_fma_f64 v[20:21], v[52:53], s[2:3], v[20:21]
	v_fma_f64 v[22:23], v[48:49], 0.5, v[22:23]
	v_add_nc_u32_e32 v55, 0x800, v82
	v_fma_f64 v[42:43], v[60:61], s[2:3], v[64:65]
	s_wait_alu 0xfffe
	v_fma_f64 v[46:47], v[60:61], s[6:7], v[64:65]
	v_fma_f64 v[24:25], v[72:73], s[2:3], v[68:69]
	;; [unrolled: 1-line block ×3, first 2 shown]
	v_add_f64_e32 v[48:49], v[38:39], v[28:29]
	v_add_f64_e64 v[28:29], v[38:39], -v[28:29]
	v_add_f64_e64 v[38:39], v[16:17], -v[18:19]
	v_add_f64_e32 v[50:51], v[42:43], v[30:31]
	v_add_f64_e32 v[52:53], v[46:47], v[40:41]
	v_add_f64_e64 v[30:31], v[42:43], -v[30:31]
	v_add_f64_e64 v[46:47], v[46:47], -v[40:41]
	;; [unrolled: 1-line block ×4, first 2 shown]
	ds_store_2addr_b64 v82, v[48:49], v[50:51] offset1:90
	ds_store_2addr_b64 v54, v[52:53], v[28:29] offset0:52 offset1:142
	ds_store_2addr_b64 v55, v[30:31], v[46:47] offset0:104 offset1:194
	s_and_saveexec_b32 s2, s1
	s_cbranch_execz .LBB0_37
; %bb.36:
	v_add_f64_e32 v[16:17], v[16:17], v[18:19]
	v_add_f64_e32 v[18:19], v[24:25], v[22:23]
	;; [unrolled: 1-line block ×3, first 2 shown]
	v_and_b32_e32 v22, 0xffff, v81
	s_delay_alu instid0(VALU_DEP_1) | instskip(NEXT) | instid1(VALU_DEP_1)
	v_lshlrev_b32_e32 v22, 3, v22
	v_add3_u32 v22, 0, v80, v22
	s_delay_alu instid0(VALU_DEP_1)
	v_add_nc_u32_e32 v23, 0x400, v22
	v_add_nc_u32_e32 v24, 0x800, v22
	ds_store_2addr_b64 v22, v[16:17], v[18:19] offset1:90
	ds_store_2addr_b64 v23, v[20:21], v[38:39] offset0:52 offset1:142
	ds_store_2addr_b64 v24, v[40:41], v[42:43] offset0:104 offset1:194
.LBB0_37:
	s_wait_alu 0xfffe
	s_or_b32 exec_lo, exec_lo, s2
	v_add_nc_u32_e32 v20, 0xa00, v57
	v_add_nc_u32_e32 v24, 0x2000, v57
	;; [unrolled: 1-line block ×3, first 2 shown]
	global_wb scope:SCOPE_SE
	s_wait_dscnt 0x0
	s_barrier_signal -1
	s_barrier_wait -1
	global_inv scope:SCOPE_SE
	ds_load_2addr_b64 v[16:19], v57 offset1:162
	ds_load_2addr_b64 v[20:23], v20 offset0:4 offset1:220
	ds_load_2addr_b64 v[24:27], v24 offset0:56 offset1:218
	ds_load_2addr_b64 v[28:31], v28 offset0:62 offset1:224
	ds_load_b64 v[48:49], v57 offset:11232
	s_and_saveexec_b32 s1, s0
	s_cbranch_execz .LBB0_39
; %bb.38:
	ds_load_b64 v[40:41], v57 offset:8208
	ds_load_b64 v[38:39], v79 offset:3888
	;; [unrolled: 1-line block ×3, first 2 shown]
.LBB0_39:
	s_wait_alu 0xfffe
	s_or_b32 exec_lo, exec_lo, s1
	s_and_saveexec_b32 s1, vcc_lo
	s_cbranch_execz .LBB0_42
; %bb.40:
	v_dual_mov_b32 v47, 0 :: v_dual_lshlrev_b32 v46, 1, v77
	s_mov_b32 s2, 0xe8584caa
	s_mov_b32 s3, 0x3febb67a
	;; [unrolled: 1-line block ×3, first 2 shown]
	s_wait_alu 0xfffe
	s_mov_b32 s6, s2
	v_lshlrev_b64_e32 v[50:51], 4, v[46:47]
	v_dual_mov_b32 v57, v47 :: v_dual_lshlrev_b32 v46, 1, v78
	s_delay_alu instid0(VALU_DEP_1) | instskip(SKIP_1) | instid1(VALU_DEP_4)
	v_lshlrev_b64_e32 v[54:55], 4, v[46:47]
	v_lshlrev_b32_e32 v46, 1, v56
	v_add_co_u32 v60, vcc_lo, s4, v50
	s_wait_alu 0xfffd
	v_add_co_ci_u32_e32 v61, vcc_lo, s5, v51, vcc_lo
	s_delay_alu instid0(VALU_DEP_3)
	v_lshlrev_b64_e32 v[64:65], 4, v[46:47]
	v_add_co_u32 v54, vcc_lo, s4, v54
	s_wait_alu 0xfffd
	v_add_co_ci_u32_e32 v55, vcc_lo, s5, v55, vcc_lo
	s_clause 0x1
	global_load_b128 v[50:53], v[60:61], off offset:8496
	global_load_b128 v[60:63], v[60:61], off offset:8480
	v_add_co_u32 v78, vcc_lo, s4, v64
	s_wait_alu 0xfffd
	v_add_co_ci_u32_e32 v79, vcc_lo, s5, v65, vcc_lo
	s_clause 0x3
	global_load_b128 v[64:67], v[54:55], off offset:8480
	global_load_b128 v[68:71], v[54:55], off offset:8496
	global_load_b128 v[72:75], v[78:79], off offset:8480
	global_load_b128 v[78:81], v[78:79], off offset:8496
	s_wait_loadcnt 0x5
	v_mul_f64_e32 v[82:83], v[44:45], v[52:53]
	s_wait_loadcnt 0x4
	v_mul_f64_e32 v[54:55], v[10:11], v[62:63]
	s_wait_dscnt 0x1
	v_mul_f64_e32 v[62:63], v[30:31], v[62:63]
	s_wait_dscnt 0x0
	v_mul_f64_e32 v[52:53], v[48:49], v[52:53]
	s_wait_loadcnt 0x3
	v_mul_f64_e32 v[84:85], v[28:29], v[66:67]
	s_wait_loadcnt 0x2
	v_mul_f64_e32 v[86:87], v[26:27], v[70:71]
	v_mul_f64_e32 v[66:67], v[8:9], v[66:67]
	;; [unrolled: 1-line block ×3, first 2 shown]
	s_wait_loadcnt 0x1
	v_mul_f64_e32 v[88:89], v[22:23], v[74:75]
	v_mul_f64_e32 v[74:75], v[2:3], v[74:75]
	s_wait_loadcnt 0x0
	v_mul_f64_e32 v[90:91], v[12:13], v[80:81]
	v_mul_f64_e32 v[80:81], v[24:25], v[80:81]
	v_fma_f64 v[48:49], v[48:49], v[50:51], v[82:83]
	v_fma_f64 v[30:31], v[30:31], v[60:61], v[54:55]
	v_fma_f64 v[10:11], v[10:11], v[60:61], -v[62:63]
	v_fma_f64 v[8:9], v[8:9], v[64:65], -v[84:85]
	;; [unrolled: 1-line block ×3, first 2 shown]
	v_fma_f64 v[28:29], v[28:29], v[64:65], v[66:67]
	v_fma_f64 v[26:27], v[26:27], v[68:69], v[70:71]
	v_fma_f64 v[2:3], v[2:3], v[72:73], -v[88:89]
	v_fma_f64 v[22:23], v[22:23], v[72:73], v[74:75]
	v_fma_f64 v[24:25], v[24:25], v[78:79], v[90:91]
	v_fma_f64 v[54:55], v[12:13], v[78:79], -v[80:81]
	v_fma_f64 v[12:13], v[44:45], v[50:51], -v[52:53]
	v_add_f64_e32 v[44:45], v[30:31], v[48:49]
	v_add_f64_e32 v[68:69], v[20:21], v[30:31]
	v_add_f64_e64 v[30:31], v[30:31], -v[48:49]
	v_add_f64_e32 v[52:53], v[8:9], v[14:15]
	v_add_f64_e32 v[72:73], v[18:19], v[28:29]
	;; [unrolled: 1-line block ×8, first 2 shown]
	v_add_f64_e64 v[66:67], v[10:11], -v[12:13]
	v_add_f64_e32 v[10:11], v[0:1], v[10:11]
	v_add_f64_e64 v[74:75], v[28:29], -v[26:27]
	v_add_f64_e32 v[28:29], v[6:7], v[8:9]
	v_add_f64_e64 v[78:79], v[2:3], -v[54:55]
	v_add_f64_e64 v[84:85], v[22:23], -v[24:25]
	;; [unrolled: 1-line block ×3, first 2 shown]
	v_fma_f64 v[44:45], v[44:45], -0.5, v[20:21]
	v_fma_f64 v[52:53], v[52:53], -0.5, v[6:7]
	v_add_f64_e32 v[8:9], v[72:73], v[26:27]
	v_fma_f64 v[18:19], v[50:51], -0.5, v[18:19]
	v_fma_f64 v[50:51], v[60:61], -0.5, v[16:17]
	v_fma_f64 v[60:61], v[62:63], -0.5, v[4:5]
	v_fma_f64 v[0:1], v[64:65], -0.5, v[0:1]
	v_add_f64_e32 v[4:5], v[68:69], v[48:49]
	v_add_f64_e32 v[2:3], v[10:11], v[12:13]
	;; [unrolled: 1-line block ×5, first 2 shown]
	s_wait_alu 0xfffe
	v_fma_f64 v[54:55], v[66:67], s[6:7], v[44:45]
	v_fma_f64 v[16:17], v[66:67], s[2:3], v[44:45]
	v_add_co_u32 v44, vcc_lo, s8, v58
	v_fma_f64 v[22:23], v[74:75], s[2:3], v[52:53]
	s_wait_alu 0xfffd
	v_add_co_ci_u32_e32 v45, vcc_lo, s9, v59, vcc_lo
	v_fma_f64 v[24:25], v[70:71], s[6:7], v[18:19]
	v_fma_f64 v[20:21], v[70:71], s[2:3], v[18:19]
	;; [unrolled: 1-line block ×9, first 2 shown]
	v_mul_hi_u32 v0, 0xf2b9d649, v77
	s_delay_alu instid0(VALU_DEP_1) | instskip(SKIP_1) | instid1(VALU_DEP_2)
	v_lshrrev_b32_e32 v30, 9, v0
	v_lshlrev_b64_e32 v[0:1], 4, v[56:57]
	v_mul_u32_u24_e32 v46, 0x438, v30
	s_delay_alu instid0(VALU_DEP_2) | instskip(SKIP_1) | instid1(VALU_DEP_3)
	v_add_co_u32 v0, vcc_lo, v44, v0
	s_wait_alu 0xfffd
	v_add_co_ci_u32_e32 v1, vcc_lo, v45, v1, vcc_lo
	s_delay_alu instid0(VALU_DEP_3) | instskip(NEXT) | instid1(VALU_DEP_1)
	v_lshlrev_b64_e32 v[30:31], 4, v[46:47]
	v_add_co_u32 v30, vcc_lo, v0, v30
	s_wait_alu 0xfffd
	s_delay_alu instid0(VALU_DEP_2)
	v_add_co_ci_u32_e32 v31, vcc_lo, v1, v31, vcc_lo
	s_clause 0x8
	global_store_b128 v[0:1], v[10:13], off
	global_store_b128 v[0:1], v[6:9], off offset:2592
	global_store_b128 v[0:1], v[26:29], off offset:8640
	;; [unrolled: 1-line block ×8, first 2 shown]
	s_and_b32 exec_lo, exec_lo, s0
	s_cbranch_execz .LBB0_42
; %bb.41:
	v_subrev_nc_u32_e32 v2, 54, v56
	s_delay_alu instid0(VALU_DEP_1) | instskip(NEXT) | instid1(VALU_DEP_1)
	v_cndmask_b32_e64 v2, v2, v76, s0
	v_lshlrev_b32_e32 v46, 1, v2
	s_delay_alu instid0(VALU_DEP_1) | instskip(NEXT) | instid1(VALU_DEP_1)
	v_lshlrev_b64_e32 v[2:3], 4, v[46:47]
	v_add_co_u32 v6, vcc_lo, s4, v2
	s_wait_alu 0xfffd
	s_delay_alu instid0(VALU_DEP_2)
	v_add_co_ci_u32_e32 v7, vcc_lo, s5, v3, vcc_lo
	s_clause 0x1
	global_load_b128 v[2:5], v[6:7], off offset:8480
	global_load_b128 v[6:9], v[6:7], off offset:8496
	s_wait_loadcnt 0x1
	v_mul_f64_e32 v[10:11], v[40:41], v[4:5]
	s_wait_loadcnt 0x0
	v_mul_f64_e32 v[12:13], v[42:43], v[8:9]
	v_mul_f64_e32 v[4:5], v[34:35], v[4:5]
	;; [unrolled: 1-line block ×3, first 2 shown]
	s_delay_alu instid0(VALU_DEP_4) | instskip(NEXT) | instid1(VALU_DEP_4)
	v_fma_f64 v[10:11], v[34:35], v[2:3], -v[10:11]
	v_fma_f64 v[12:13], v[36:37], v[6:7], -v[12:13]
	s_delay_alu instid0(VALU_DEP_4) | instskip(NEXT) | instid1(VALU_DEP_4)
	v_fma_f64 v[2:3], v[40:41], v[2:3], v[4:5]
	v_fma_f64 v[4:5], v[42:43], v[6:7], v[8:9]
	s_delay_alu instid0(VALU_DEP_4) | instskip(NEXT) | instid1(VALU_DEP_4)
	v_add_f64_e32 v[14:15], v[32:33], v[10:11]
	v_add_f64_e32 v[6:7], v[10:11], v[12:13]
	s_delay_alu instid0(VALU_DEP_4) | instskip(NEXT) | instid1(VALU_DEP_4)
	v_add_f64_e32 v[18:19], v[38:39], v[2:3]
	v_add_f64_e32 v[8:9], v[2:3], v[4:5]
	v_add_f64_e64 v[16:17], v[2:3], -v[4:5]
	v_add_f64_e64 v[22:23], v[10:11], -v[12:13]
	v_add_f64_e32 v[2:3], v[14:15], v[12:13]
	v_fma_f64 v[20:21], v[6:7], -0.5, v[32:33]
	v_add_f64_e32 v[4:5], v[18:19], v[4:5]
	v_fma_f64 v[24:25], v[8:9], -0.5, v[38:39]
	s_delay_alu instid0(VALU_DEP_3) | instskip(SKIP_1) | instid1(VALU_DEP_3)
	v_fma_f64 v[6:7], v[16:17], s[2:3], v[20:21]
	v_fma_f64 v[10:11], v[16:17], s[6:7], v[20:21]
	;; [unrolled: 1-line block ×4, first 2 shown]
	s_clause 0x2
	global_store_b128 v[0:1], v[2:5], off offset:7776
	global_store_b128 v[0:1], v[6:9], off offset:16416
	;; [unrolled: 1-line block ×3, first 2 shown]
.LBB0_42:
	s_nop 0
	s_sendmsg sendmsg(MSG_DEALLOC_VGPRS)
	s_endpgm
	.section	.rodata,"a",@progbits
	.p2align	6, 0x0
	.amdhsa_kernel fft_rtc_fwd_len1620_factors_10_3_3_6_3_wgs_162_tpt_162_halfLds_dp_ip_CI_unitstride_sbrr_dirReg
		.amdhsa_group_segment_fixed_size 0
		.amdhsa_private_segment_fixed_size 0
		.amdhsa_kernarg_size 88
		.amdhsa_user_sgpr_count 2
		.amdhsa_user_sgpr_dispatch_ptr 0
		.amdhsa_user_sgpr_queue_ptr 0
		.amdhsa_user_sgpr_kernarg_segment_ptr 1
		.amdhsa_user_sgpr_dispatch_id 0
		.amdhsa_user_sgpr_private_segment_size 0
		.amdhsa_wavefront_size32 1
		.amdhsa_uses_dynamic_stack 0
		.amdhsa_enable_private_segment 0
		.amdhsa_system_sgpr_workgroup_id_x 1
		.amdhsa_system_sgpr_workgroup_id_y 0
		.amdhsa_system_sgpr_workgroup_id_z 0
		.amdhsa_system_sgpr_workgroup_info 0
		.amdhsa_system_vgpr_workitem_id 0
		.amdhsa_next_free_vgpr 117
		.amdhsa_next_free_sgpr 32
		.amdhsa_reserve_vcc 1
		.amdhsa_float_round_mode_32 0
		.amdhsa_float_round_mode_16_64 0
		.amdhsa_float_denorm_mode_32 3
		.amdhsa_float_denorm_mode_16_64 3
		.amdhsa_fp16_overflow 0
		.amdhsa_workgroup_processor_mode 1
		.amdhsa_memory_ordered 1
		.amdhsa_forward_progress 0
		.amdhsa_round_robin_scheduling 0
		.amdhsa_exception_fp_ieee_invalid_op 0
		.amdhsa_exception_fp_denorm_src 0
		.amdhsa_exception_fp_ieee_div_zero 0
		.amdhsa_exception_fp_ieee_overflow 0
		.amdhsa_exception_fp_ieee_underflow 0
		.amdhsa_exception_fp_ieee_inexact 0
		.amdhsa_exception_int_div_zero 0
	.end_amdhsa_kernel
	.text
.Lfunc_end0:
	.size	fft_rtc_fwd_len1620_factors_10_3_3_6_3_wgs_162_tpt_162_halfLds_dp_ip_CI_unitstride_sbrr_dirReg, .Lfunc_end0-fft_rtc_fwd_len1620_factors_10_3_3_6_3_wgs_162_tpt_162_halfLds_dp_ip_CI_unitstride_sbrr_dirReg
                                        ; -- End function
	.section	.AMDGPU.csdata,"",@progbits
; Kernel info:
; codeLenInByte = 9196
; NumSgprs: 34
; NumVgprs: 117
; ScratchSize: 0
; MemoryBound: 1
; FloatMode: 240
; IeeeMode: 1
; LDSByteSize: 0 bytes/workgroup (compile time only)
; SGPRBlocks: 4
; VGPRBlocks: 14
; NumSGPRsForWavesPerEU: 34
; NumVGPRsForWavesPerEU: 117
; Occupancy: 12
; WaveLimiterHint : 1
; COMPUTE_PGM_RSRC2:SCRATCH_EN: 0
; COMPUTE_PGM_RSRC2:USER_SGPR: 2
; COMPUTE_PGM_RSRC2:TRAP_HANDLER: 0
; COMPUTE_PGM_RSRC2:TGID_X_EN: 1
; COMPUTE_PGM_RSRC2:TGID_Y_EN: 0
; COMPUTE_PGM_RSRC2:TGID_Z_EN: 0
; COMPUTE_PGM_RSRC2:TIDIG_COMP_CNT: 0
	.text
	.p2alignl 7, 3214868480
	.fill 96, 4, 3214868480
	.type	__hip_cuid_295457f0e80a3748,@object ; @__hip_cuid_295457f0e80a3748
	.section	.bss,"aw",@nobits
	.globl	__hip_cuid_295457f0e80a3748
__hip_cuid_295457f0e80a3748:
	.byte	0                               ; 0x0
	.size	__hip_cuid_295457f0e80a3748, 1

	.ident	"AMD clang version 19.0.0git (https://github.com/RadeonOpenCompute/llvm-project roc-6.4.0 25133 c7fe45cf4b819c5991fe208aaa96edf142730f1d)"
	.section	".note.GNU-stack","",@progbits
	.addrsig
	.addrsig_sym __hip_cuid_295457f0e80a3748
	.amdgpu_metadata
---
amdhsa.kernels:
  - .args:
      - .actual_access:  read_only
        .address_space:  global
        .offset:         0
        .size:           8
        .value_kind:     global_buffer
      - .offset:         8
        .size:           8
        .value_kind:     by_value
      - .actual_access:  read_only
        .address_space:  global
        .offset:         16
        .size:           8
        .value_kind:     global_buffer
      - .actual_access:  read_only
        .address_space:  global
        .offset:         24
        .size:           8
        .value_kind:     global_buffer
      - .offset:         32
        .size:           8
        .value_kind:     by_value
      - .actual_access:  read_only
        .address_space:  global
        .offset:         40
        .size:           8
        .value_kind:     global_buffer
      - .actual_access:  read_only
        .address_space:  global
        .offset:         48
        .size:           8
        .value_kind:     global_buffer
      - .offset:         56
        .size:           4
        .value_kind:     by_value
      - .actual_access:  read_only
        .address_space:  global
        .offset:         64
        .size:           8
        .value_kind:     global_buffer
      - .actual_access:  read_only
        .address_space:  global
        .offset:         72
        .size:           8
        .value_kind:     global_buffer
      - .address_space:  global
        .offset:         80
        .size:           8
        .value_kind:     global_buffer
    .group_segment_fixed_size: 0
    .kernarg_segment_align: 8
    .kernarg_segment_size: 88
    .language:       OpenCL C
    .language_version:
      - 2
      - 0
    .max_flat_workgroup_size: 162
    .name:           fft_rtc_fwd_len1620_factors_10_3_3_6_3_wgs_162_tpt_162_halfLds_dp_ip_CI_unitstride_sbrr_dirReg
    .private_segment_fixed_size: 0
    .sgpr_count:     34
    .sgpr_spill_count: 0
    .symbol:         fft_rtc_fwd_len1620_factors_10_3_3_6_3_wgs_162_tpt_162_halfLds_dp_ip_CI_unitstride_sbrr_dirReg.kd
    .uniform_work_group_size: 1
    .uses_dynamic_stack: false
    .vgpr_count:     117
    .vgpr_spill_count: 0
    .wavefront_size: 32
    .workgroup_processor_mode: 1
amdhsa.target:   amdgcn-amd-amdhsa--gfx1201
amdhsa.version:
  - 1
  - 2
...

	.end_amdgpu_metadata
